;; amdgpu-corpus repo=ROCm/rocFFT kind=compiled arch=gfx906 opt=O3
	.text
	.amdgcn_target "amdgcn-amd-amdhsa--gfx906"
	.amdhsa_code_object_version 6
	.protected	fft_rtc_fwd_len1496_factors_17_8_11_wgs_187_tpt_187_halfLds_half_ip_CI_unitstride_sbrr_dirReg ; -- Begin function fft_rtc_fwd_len1496_factors_17_8_11_wgs_187_tpt_187_halfLds_half_ip_CI_unitstride_sbrr_dirReg
	.globl	fft_rtc_fwd_len1496_factors_17_8_11_wgs_187_tpt_187_halfLds_half_ip_CI_unitstride_sbrr_dirReg
	.p2align	8
	.type	fft_rtc_fwd_len1496_factors_17_8_11_wgs_187_tpt_187_halfLds_half_ip_CI_unitstride_sbrr_dirReg,@function
fft_rtc_fwd_len1496_factors_17_8_11_wgs_187_tpt_187_halfLds_half_ip_CI_unitstride_sbrr_dirReg: ; @fft_rtc_fwd_len1496_factors_17_8_11_wgs_187_tpt_187_halfLds_half_ip_CI_unitstride_sbrr_dirReg
; %bb.0:
	s_load_dwordx2 s[12:13], s[4:5], 0x50
	s_load_dwordx4 s[8:11], s[4:5], 0x0
	s_load_dwordx2 s[2:3], s[4:5], 0x18
	v_mul_u32_u24_e32 v1, 0x15f, v0
	v_add_u32_sdwa v5, s6, v1 dst_sel:DWORD dst_unused:UNUSED_PAD src0_sel:DWORD src1_sel:WORD_1
	v_mov_b32_e32 v3, 0
	s_waitcnt lgkmcnt(0)
	v_cmp_lt_u64_e64 s[0:1], s[10:11], 2
	v_mov_b32_e32 v1, 0
	v_mov_b32_e32 v6, v3
	s_and_b64 vcc, exec, s[0:1]
	v_mov_b32_e32 v2, 0
	s_cbranch_vccnz .LBB0_8
; %bb.1:
	s_load_dwordx2 s[0:1], s[4:5], 0x10
	s_add_u32 s6, s2, 8
	s_addc_u32 s7, s3, 0
	v_mov_b32_e32 v1, 0
	v_mov_b32_e32 v2, 0
	s_waitcnt lgkmcnt(0)
	s_add_u32 s14, s0, 8
	s_addc_u32 s15, s1, 0
	s_mov_b64 s[16:17], 1
.LBB0_2:                                ; =>This Inner Loop Header: Depth=1
	s_load_dwordx2 s[18:19], s[14:15], 0x0
                                        ; implicit-def: $vgpr7_vgpr8
	s_waitcnt lgkmcnt(0)
	v_or_b32_e32 v4, s19, v6
	v_cmp_ne_u64_e32 vcc, 0, v[3:4]
	s_and_saveexec_b64 s[0:1], vcc
	s_xor_b64 s[20:21], exec, s[0:1]
	s_cbranch_execz .LBB0_4
; %bb.3:                                ;   in Loop: Header=BB0_2 Depth=1
	v_cvt_f32_u32_e32 v4, s18
	v_cvt_f32_u32_e32 v7, s19
	s_sub_u32 s0, 0, s18
	s_subb_u32 s1, 0, s19
	v_mac_f32_e32 v4, 0x4f800000, v7
	v_rcp_f32_e32 v4, v4
	v_mul_f32_e32 v4, 0x5f7ffffc, v4
	v_mul_f32_e32 v7, 0x2f800000, v4
	v_trunc_f32_e32 v7, v7
	v_mac_f32_e32 v4, 0xcf800000, v7
	v_cvt_u32_f32_e32 v7, v7
	v_cvt_u32_f32_e32 v4, v4
	v_mul_lo_u32 v8, s0, v7
	v_mul_hi_u32 v9, s0, v4
	v_mul_lo_u32 v11, s1, v4
	v_mul_lo_u32 v10, s0, v4
	v_add_u32_e32 v8, v9, v8
	v_add_u32_e32 v8, v8, v11
	v_mul_hi_u32 v9, v4, v10
	v_mul_lo_u32 v11, v4, v8
	v_mul_hi_u32 v13, v4, v8
	v_mul_hi_u32 v12, v7, v10
	v_mul_lo_u32 v10, v7, v10
	v_mul_hi_u32 v14, v7, v8
	v_add_co_u32_e32 v9, vcc, v9, v11
	v_addc_co_u32_e32 v11, vcc, 0, v13, vcc
	v_mul_lo_u32 v8, v7, v8
	v_add_co_u32_e32 v9, vcc, v9, v10
	v_addc_co_u32_e32 v9, vcc, v11, v12, vcc
	v_addc_co_u32_e32 v10, vcc, 0, v14, vcc
	v_add_co_u32_e32 v8, vcc, v9, v8
	v_addc_co_u32_e32 v9, vcc, 0, v10, vcc
	v_add_co_u32_e32 v4, vcc, v4, v8
	v_addc_co_u32_e32 v7, vcc, v7, v9, vcc
	v_mul_lo_u32 v8, s0, v7
	v_mul_hi_u32 v9, s0, v4
	v_mul_lo_u32 v10, s1, v4
	v_mul_lo_u32 v11, s0, v4
	v_add_u32_e32 v8, v9, v8
	v_add_u32_e32 v8, v8, v10
	v_mul_lo_u32 v12, v4, v8
	v_mul_hi_u32 v13, v4, v11
	v_mul_hi_u32 v14, v4, v8
	;; [unrolled: 1-line block ×3, first 2 shown]
	v_mul_lo_u32 v11, v7, v11
	v_mul_hi_u32 v9, v7, v8
	v_add_co_u32_e32 v12, vcc, v13, v12
	v_addc_co_u32_e32 v13, vcc, 0, v14, vcc
	v_mul_lo_u32 v8, v7, v8
	v_add_co_u32_e32 v11, vcc, v12, v11
	v_addc_co_u32_e32 v10, vcc, v13, v10, vcc
	v_addc_co_u32_e32 v9, vcc, 0, v9, vcc
	v_add_co_u32_e32 v8, vcc, v10, v8
	v_addc_co_u32_e32 v9, vcc, 0, v9, vcc
	v_add_co_u32_e32 v4, vcc, v4, v8
	v_addc_co_u32_e32 v9, vcc, v7, v9, vcc
	v_mad_u64_u32 v[7:8], s[0:1], v5, v9, 0
	v_mul_hi_u32 v10, v5, v4
	v_add_co_u32_e32 v11, vcc, v10, v7
	v_addc_co_u32_e32 v12, vcc, 0, v8, vcc
	v_mad_u64_u32 v[7:8], s[0:1], v6, v4, 0
	v_mad_u64_u32 v[9:10], s[0:1], v6, v9, 0
	v_add_co_u32_e32 v4, vcc, v11, v7
	v_addc_co_u32_e32 v4, vcc, v12, v8, vcc
	v_addc_co_u32_e32 v7, vcc, 0, v10, vcc
	v_add_co_u32_e32 v4, vcc, v4, v9
	v_addc_co_u32_e32 v9, vcc, 0, v7, vcc
	v_mul_lo_u32 v10, s19, v4
	v_mul_lo_u32 v11, s18, v9
	v_mad_u64_u32 v[7:8], s[0:1], s18, v4, 0
	v_add3_u32 v8, v8, v11, v10
	v_sub_u32_e32 v10, v6, v8
	v_mov_b32_e32 v11, s19
	v_sub_co_u32_e32 v7, vcc, v5, v7
	v_subb_co_u32_e64 v10, s[0:1], v10, v11, vcc
	v_subrev_co_u32_e64 v11, s[0:1], s18, v7
	v_subbrev_co_u32_e64 v10, s[0:1], 0, v10, s[0:1]
	v_cmp_le_u32_e64 s[0:1], s19, v10
	v_cndmask_b32_e64 v12, 0, -1, s[0:1]
	v_cmp_le_u32_e64 s[0:1], s18, v11
	v_cndmask_b32_e64 v11, 0, -1, s[0:1]
	v_cmp_eq_u32_e64 s[0:1], s19, v10
	v_cndmask_b32_e64 v10, v12, v11, s[0:1]
	v_add_co_u32_e64 v11, s[0:1], 2, v4
	v_addc_co_u32_e64 v12, s[0:1], 0, v9, s[0:1]
	v_add_co_u32_e64 v13, s[0:1], 1, v4
	v_addc_co_u32_e64 v14, s[0:1], 0, v9, s[0:1]
	v_subb_co_u32_e32 v8, vcc, v6, v8, vcc
	v_cmp_ne_u32_e64 s[0:1], 0, v10
	v_cmp_le_u32_e32 vcc, s19, v8
	v_cndmask_b32_e64 v10, v14, v12, s[0:1]
	v_cndmask_b32_e64 v12, 0, -1, vcc
	v_cmp_le_u32_e32 vcc, s18, v7
	v_cndmask_b32_e64 v7, 0, -1, vcc
	v_cmp_eq_u32_e32 vcc, s19, v8
	v_cndmask_b32_e32 v7, v12, v7, vcc
	v_cmp_ne_u32_e32 vcc, 0, v7
	v_cndmask_b32_e64 v7, v13, v11, s[0:1]
	v_cndmask_b32_e32 v8, v9, v10, vcc
	v_cndmask_b32_e32 v7, v4, v7, vcc
.LBB0_4:                                ;   in Loop: Header=BB0_2 Depth=1
	s_andn2_saveexec_b64 s[0:1], s[20:21]
	s_cbranch_execz .LBB0_6
; %bb.5:                                ;   in Loop: Header=BB0_2 Depth=1
	v_cvt_f32_u32_e32 v4, s18
	s_sub_i32 s20, 0, s18
	v_rcp_iflag_f32_e32 v4, v4
	v_mul_f32_e32 v4, 0x4f7ffffe, v4
	v_cvt_u32_f32_e32 v4, v4
	v_mul_lo_u32 v7, s20, v4
	v_mul_hi_u32 v7, v4, v7
	v_add_u32_e32 v4, v4, v7
	v_mul_hi_u32 v4, v5, v4
	v_mul_lo_u32 v7, v4, s18
	v_add_u32_e32 v8, 1, v4
	v_sub_u32_e32 v7, v5, v7
	v_subrev_u32_e32 v9, s18, v7
	v_cmp_le_u32_e32 vcc, s18, v7
	v_cndmask_b32_e32 v7, v7, v9, vcc
	v_cndmask_b32_e32 v4, v4, v8, vcc
	v_add_u32_e32 v8, 1, v4
	v_cmp_le_u32_e32 vcc, s18, v7
	v_cndmask_b32_e32 v7, v4, v8, vcc
	v_mov_b32_e32 v8, v3
.LBB0_6:                                ;   in Loop: Header=BB0_2 Depth=1
	s_or_b64 exec, exec, s[0:1]
	v_mul_lo_u32 v4, v8, s18
	v_mul_lo_u32 v11, v7, s19
	v_mad_u64_u32 v[9:10], s[0:1], v7, s18, 0
	s_load_dwordx2 s[0:1], s[6:7], 0x0
	s_add_u32 s16, s16, 1
	v_add3_u32 v4, v10, v11, v4
	v_sub_co_u32_e32 v5, vcc, v5, v9
	v_subb_co_u32_e32 v4, vcc, v6, v4, vcc
	s_waitcnt lgkmcnt(0)
	v_mul_lo_u32 v4, s0, v4
	v_mul_lo_u32 v6, s1, v5
	v_mad_u64_u32 v[1:2], s[0:1], s0, v5, v[1:2]
	s_addc_u32 s17, s17, 0
	s_add_u32 s6, s6, 8
	v_add3_u32 v2, v6, v2, v4
	v_mov_b32_e32 v4, s10
	v_mov_b32_e32 v5, s11
	s_addc_u32 s7, s7, 0
	v_cmp_ge_u64_e32 vcc, s[16:17], v[4:5]
	s_add_u32 s14, s14, 8
	s_addc_u32 s15, s15, 0
	s_cbranch_vccnz .LBB0_9
; %bb.7:                                ;   in Loop: Header=BB0_2 Depth=1
	v_mov_b32_e32 v5, v7
	v_mov_b32_e32 v6, v8
	s_branch .LBB0_2
.LBB0_8:
	v_mov_b32_e32 v8, v6
	v_mov_b32_e32 v7, v5
.LBB0_9:
	s_lshl_b64 s[0:1], s[10:11], 3
	s_add_u32 s0, s2, s0
	s_addc_u32 s1, s3, s1
	s_load_dwordx2 s[2:3], s[0:1], 0x0
	s_load_dwordx2 s[6:7], s[4:5], 0x20
                                        ; implicit-def: $vgpr10
                                        ; implicit-def: $vgpr11
                                        ; implicit-def: $vgpr17
                                        ; implicit-def: $vgpr12
                                        ; implicit-def: $vgpr22
                                        ; implicit-def: $vgpr13
                                        ; implicit-def: $vgpr25
                                        ; implicit-def: $vgpr14
                                        ; implicit-def: $vgpr28
                                        ; implicit-def: $vgpr15
                                        ; implicit-def: $vgpr30
                                        ; implicit-def: $vgpr16
                                        ; implicit-def: $vgpr31
                                        ; implicit-def: $vgpr18
                                        ; implicit-def: $vgpr32
                                        ; implicit-def: $vgpr19
                                        ; implicit-def: $vgpr40
                                        ; implicit-def: $vgpr20
                                        ; implicit-def: $vgpr39
                                        ; implicit-def: $vgpr21
                                        ; implicit-def: $vgpr38
                                        ; implicit-def: $vgpr23
                                        ; implicit-def: $vgpr37
                                        ; implicit-def: $vgpr24
                                        ; implicit-def: $vgpr36
                                        ; implicit-def: $vgpr26
                                        ; implicit-def: $vgpr35
                                        ; implicit-def: $vgpr27
                                        ; implicit-def: $vgpr34
                                        ; implicit-def: $vgpr29
                                        ; implicit-def: $vgpr33
	s_waitcnt lgkmcnt(0)
	v_mad_u64_u32 v[1:2], s[0:1], s2, v7, v[1:2]
	s_mov_b32 s0, 0x15e75bc
	v_mul_lo_u32 v3, s2, v8
	v_mul_lo_u32 v4, s3, v7
	v_mul_hi_u32 v5, v0, s0
	v_cmp_gt_u64_e32 vcc, s[6:7], v[7:8]
	s_movk_i32 s0, 0x58
	v_add3_u32 v2, v4, v2, v3
	v_mul_u32_u24_e32 v3, 0xbb, v5
	v_sub_u32_e32 v6, v0, v3
	v_cmp_gt_u32_e64 s[0:1], s0, v6
	v_lshlrev_b64 v[8:9], 2, v[1:2]
	s_and_b64 s[2:3], vcc, s[0:1]
	v_mov_b32_e32 v4, 0
	v_mov_b32_e32 v1, 0
                                        ; implicit-def: $vgpr5
	s_and_saveexec_b64 s[4:5], s[2:3]
	s_cbranch_execz .LBB0_11
; %bb.10:
	v_mov_b32_e32 v7, 0
	v_mov_b32_e32 v0, s13
	v_add_co_u32_e64 v11, s[2:3], s12, v8
	v_addc_co_u32_e64 v12, s[2:3], v0, v9, s[2:3]
	v_lshlrev_b64 v[0:1], 2, v[6:7]
	v_add_co_u32_e64 v2, s[2:3], v11, v0
	v_addc_co_u32_e64 v3, s[2:3], v12, v1, s[2:3]
	s_movk_i32 s2, 0x1000
	v_add_co_u32_e64 v4, s[2:3], s2, v2
	global_load_dword v1, v[2:3], off
	global_load_dword v10, v[2:3], off offset:352
	global_load_dword v17, v[2:3], off offset:704
	global_load_dword v22, v[2:3], off offset:1056
	global_load_dword v25, v[2:3], off offset:1408
	global_load_dword v28, v[2:3], off offset:1760
	global_load_dword v30, v[2:3], off offset:2112
	global_load_dword v31, v[2:3], off offset:2464
	v_addc_co_u32_e64 v5, s[2:3], 0, v3, s[2:3]
	global_load_dword v32, v[2:3], off offset:2816
	global_load_dword v33, v[2:3], off offset:3168
	;; [unrolled: 1-line block ×8, first 2 shown]
	v_or_b32_e32 v2, 0x580, v6
	v_mov_b32_e32 v3, v7
	v_lshlrev_b64 v[2:3], 2, v[2:3]
	v_add_co_u32_e64 v2, s[2:3], v11, v2
	v_addc_co_u32_e64 v3, s[2:3], v12, v3, s[2:3]
	global_load_dword v40, v[2:3], off
	s_waitcnt vmcnt(16)
	v_lshrrev_b32_e32 v4, 16, v1
	s_waitcnt vmcnt(15)
	v_lshrrev_b32_e32 v5, 16, v10
	;; [unrolled: 2-line block ×17, first 2 shown]
.LBB0_11:
	s_or_b64 exec, exec, s[4:5]
	v_add_f16_e32 v2, v10, v40
	s_mov_b32 s4, 0xbacdbbdd
	v_sub_f16_e32 v3, v5, v19
	v_pk_mul_f16 v0, v2, s4 op_sel_hi:[0,1]
	s_mov_b32 s10, 0xb836b1e1
	s_mov_b32 s5, 0x37223b76
	v_add_f16_e32 v41, v17, v39
	v_pk_fma_f16 v7, v3, s10, v0 op_sel_hi:[0,1,1]
	s_mov_b32 s14, 0x3b2935c8
	v_sub_f16_e32 v42, v11, v20
	v_pk_mul_f16 v54, v41, s5 op_sel_hi:[0,1]
	v_pk_add_f16 v7, v1, v7 op_sel_hi:[0,1]
	v_pk_fma_f16 v43, v42, s14, v54 op_sel_hi:[0,1,1]
	v_pk_add_f16 v7, v7, v43
	s_mov_b32 s6, 0x2de8bacd
	v_add_f16_e32 v43, v22, v38
	s_mov_b32 s16, 0xbbf7b836
	v_sub_f16_e32 v44, v12, v21
	v_pk_mul_f16 v55, v43, s6 op_sel_hi:[0,1]
	v_pk_fma_f16 v45, v44, s16, v55 op_sel_hi:[0,1,1]
	v_pk_add_f16 v7, v7, v45
	s_mov_b32 s7, 0xb8d239e9
	v_add_f16_e32 v45, v25, v37
	s_mov_b32 s18, 0x3a623964
	v_sub_f16_e32 v46, v13, v23
	v_pk_mul_f16 v56, v45, s7 op_sel_hi:[0,1]
	;; [unrolled: 7-line block ×5, first 2 shown]
	v_pk_fma_f16 v53, v52, s22, v59 op_sel_hi:[0,1,1]
	v_pk_add_f16 v63, v7, v53
	v_pk_fma_f16 v53, v3, s10, v0 op_sel_hi:[0,1,1] neg_lo:[1,0,0] neg_hi:[1,0,0]
	v_pk_fma_f16 v54, v42, s14, v54 op_sel_hi:[0,1,1] neg_lo:[1,0,0] neg_hi:[1,0,0]
	v_add_f16_e32 v0, v1, v53
	v_add_f16_e32 v0, v0, v54
	v_pk_fma_f16 v55, v44, s16, v55 op_sel_hi:[0,1,1] neg_lo:[1,0,0] neg_hi:[1,0,0]
	v_add_f16_e32 v0, v0, v55
	v_pk_fma_f16 v56, v46, s18, v56 op_sel_hi:[0,1,1] neg_lo:[1,0,0] neg_hi:[1,0,0]
	;; [unrolled: 2-line block ×4, first 2 shown]
	s_mov_b32 s24, 0xbbb23bf7
	v_sub_f16_e32 v62, v18, v29
	v_add_f16_e32 v0, v0, v58
	v_pk_fma_f16 v59, v52, s22, v59 op_sel_hi:[0,1,1] neg_lo:[1,0,0] neg_hi:[1,0,0]
	s_mov_b32 s23, 0xb4612de8
	v_add_f16_e32 v61, v32, v33
	v_pk_mul_f16 v7, v62, s24 op_sel_hi:[0,1]
	v_add_f16_e32 v0, v0, v59
	v_pk_fma_f16 v64, v61, s23, v7 op_sel_hi:[0,1,1]
	v_pk_fma_f16 v60, v61, s23, v7 op_sel_hi:[0,1,1] neg_lo:[0,0,1] neg_hi:[0,0,1]
	s_mov_b32 s11, 0x5040100
	v_add_f16_e32 v7, v0, v60
	v_pk_add_f16 v0, v63, v64
	s_and_saveexec_b64 s[2:3], s[0:1]
	s_cbranch_execz .LBB0_13
; %bb.12:
	v_pack_b32_f16 v2, v2, v2
	v_add_f16_sdwa v53, v1, v53 dst_sel:DWORD dst_unused:UNUSED_PAD src0_sel:DWORD src1_sel:WORD_1
	s_mov_b32 s42, 0x39e93b76
	v_pack_b32_f16 v3, v3, v3
	v_pack_b32_f16 v41, v41, v41
	v_add_f16_sdwa v53, v53, v54 dst_sel:DWORD dst_unused:UNUSED_PAD src0_sel:DWORD src1_sel:WORD_1
	s_mov_b32 s25, 0xb8d2b461
	s_mov_b32 s34, 0x2de83722
	v_pk_mul_f16 v73, v2, s42
	s_mov_b32 s42, 0xb964b5c8
	s_mov_b32 s43, 0x2de839e9
	v_perm_b32 v63, v1, v1, s11
	v_pack_b32_f16 v64, v42, v42
	v_pack_b32_f16 v42, v43, v43
	;; [unrolled: 1-line block ×8, first 2 shown]
	v_add_f16_sdwa v53, v53, v55 dst_sel:DWORD dst_unused:UNUSED_PAD src0_sel:DWORD src1_sel:WORD_1
	v_pk_mul_f16 v54, v2, s25
	s_mov_b32 s26, 0xb461bacd
	v_pk_mul_f16 v62, v2, s34
	s_mov_b32 s35, 0xbbddb8d2
	;; [unrolled: 2-line block ×3, first 2 shown]
	s_mov_b32 s44, 0xb8d23722
	v_pk_fma_f16 v2, v3, s42, v73 neg_lo:[1,0,0] neg_hi:[1,0,0]
	v_pack_b32_f16 v65, v44, v44
	v_add_f16_sdwa v53, v53, v56 dst_sel:DWORD dst_unused:UNUSED_PAD src0_sel:DWORD src1_sel:WORD_1
	v_pk_mul_f16 v55, v41, s26
	v_pk_mul_f16 v66, v41, s35
	;; [unrolled: 1-line block ×3, first 2 shown]
	s_mov_b32 s44, 0xba62bb29
	s_mov_b32 s45, 0xbbdd2de8
	v_pk_add_f16 v2, v63, v2
	v_pk_fma_f16 v41, v64, s43, v74 neg_lo:[1,0,0] neg_hi:[1,0,0]
	v_pack_b32_f16 v44, v47, v47
	v_add_f16_sdwa v53, v53, v57 dst_sel:DWORD dst_unused:UNUSED_PAD src0_sel:DWORD src1_sel:WORD_1
	v_pk_mul_f16 v76, v43, s45
	s_mov_b32 s45, 0xb1e1bbf7
	s_mov_b32 s46, 0xbacdb461
	v_pk_add_f16 v2, v2, v41
	v_pk_fma_f16 v41, v65, s44, v75 neg_lo:[1,0,0] neg_hi:[1,0,0]
	v_pack_b32_f16 v47, v49, v49
	v_add_f16_sdwa v53, v53, v58 dst_sel:DWORD dst_unused:UNUSED_PAD src0_sel:DWORD src1_sel:WORD_1
	s_mov_b32 s30, 0x39e92de8
	s_mov_b32 s39, 0xbacd3b76
	v_pk_mul_f16 v77, v44, s46
	s_mov_b32 s46, 0x3836bbb2
	s_mov_b32 s47, 0xb461b8d2
	v_pk_add_f16 v2, v2, v41
	v_pk_fma_f16 v41, v45, s45, v76 neg_lo:[1,0,0] neg_hi:[1,0,0]
	v_pack_b32_f16 v49, v51, v51
	v_add_f16_sdwa v53, v53, v59 dst_sel:DWORD dst_unused:UNUSED_PAD src0_sel:DWORD src1_sel:WORD_1
	v_pk_mul_f16 v59, v47, s30
	s_mov_b32 s31, 0xbbdd3b76
	v_pk_mul_f16 v70, v47, s39
	s_mov_b32 s40, 0xb8d22de8
	v_pk_mul_f16 v47, v47, s47
	s_mov_b32 s47, 0x3bb2ba62
	s_mov_b32 s48, 0x3722bacd
	v_pk_add_f16 v2, v2, v41
	v_pk_fma_f16 v41, v46, s46, v77 neg_lo:[1,0,0] neg_hi:[1,0,0]
	v_pack_b32_f16 v51, v61, v61
	v_add_f16_sdwa v53, v53, v60 dst_sel:DWORD dst_unused:UNUSED_PAD src0_sel:DWORD src1_sel:WORD_1
	v_pk_mul_f16 v60, v49, s31
	s_mov_b32 s33, 0x3722b8d2
	v_pk_mul_f16 v71, v49, s40
	s_mov_b32 s41, 0x39e9bacd
	;; [unrolled: 2-line block ×3, first 2 shown]
	s_mov_b32 s49, 0x3b76bbdd
	v_pk_add_f16 v2, v2, v41
	v_pk_fma_f16 v41, v48, s47, v47 neg_lo:[1,0,0] neg_hi:[1,0,0]
	v_pk_mul_f16 v61, v51, s33
	v_pk_mul_f16 v72, v51, s41
	;; [unrolled: 1-line block ×3, first 2 shown]
	s_mov_b32 s49, 0x35c8b1e1
	v_pk_add_f16 v2, v2, v41
	v_pk_fma_f16 v41, v50, s48, v49 neg_lo:[1,0,0] neg_hi:[1,0,0]
	s_mov_b32 s34, 0xbbf7bb29
	v_pk_add_f16 v2, v2, v41
	v_pk_fma_f16 v41, v52, s49, v51 neg_lo:[1,0,0] neg_hi:[1,0,0]
	s_mov_b32 s27, 0x3b7639e9
	s_mov_b32 s35, 0xb1e1ba62
	;; [unrolled: 1-line block ×3, first 2 shown]
	v_pk_add_f16 v2, v2, v41
	v_pk_fma_f16 v41, v3, s34, v62 neg_lo:[1,0,0] neg_hi:[1,0,0]
	v_pk_mul_f16 v56, v42, s27
	v_pk_mul_f16 v67, v42, s36
	s_mov_b32 s36, 0x3bb231e1
	s_mov_b32 s37, 0x3b76b461
	v_add_f16_e32 v1, v1, v10
	v_pk_add_f16 v41, v63, v41
	v_pk_fma_f16 v42, v64, s35, v66 neg_lo:[1,0,0] neg_hi:[1,0,0]
	v_pk_mul_f16 v68, v43, s37
	s_mov_b32 s37, 0x35c83bb2
	s_mov_b32 s38, 0x372239e9
	v_add_f16_e32 v1, v1, v17
	v_pk_add_f16 v41, v41, v42
	v_pk_fma_f16 v42, v65, s36, v67 neg_lo:[1,0,0] neg_hi:[1,0,0]
	v_pk_mul_f16 v69, v44, s38
	s_mov_b32 s38, 0xbb293964
	v_add_f16_e32 v1, v1, v22
	v_pk_add_f16 v41, v41, v42
	v_pk_fma_f16 v42, v45, s37, v68 neg_lo:[1,0,0] neg_hi:[1,0,0]
	s_mov_b32 s39, 0xb836b5c8
	v_add_f16_e32 v1, v1, v25
	v_pk_add_f16 v41, v41, v42
	v_pk_fma_f16 v42, v46, s38, v69 neg_lo:[1,0,0] neg_hi:[1,0,0]
	s_mov_b32 s40, 0x3a62bbf7
	v_add_f16_e32 v1, v1, v28
	v_pk_add_f16 v41, v41, v42
	v_pk_fma_f16 v42, v48, s39, v70 neg_lo:[1,0,0] neg_hi:[1,0,0]
	s_mov_b32 s41, 0x3964b836
	v_add_f16_e32 v1, v1, v30
	v_pk_add_f16 v41, v41, v42
	v_pk_fma_f16 v42, v50, s40, v71 neg_lo:[1,0,0] neg_hi:[1,0,0]
	s_mov_b32 s25, 0xba62bbb2
	v_add_f16_e32 v1, v1, v31
	v_pk_add_f16 v41, v41, v42
	v_pk_fma_f16 v42, v52, s41, v72 neg_lo:[1,0,0] neg_hi:[1,0,0]
	s_mov_b32 s26, 0x3bb23836
	s_mov_b32 s28, 0xbacd3722
	v_add_f16_e32 v1, v1, v32
	v_pk_add_f16 v41, v41, v42
	v_pk_fma_f16 v42, v3, s25, v54 neg_lo:[1,0,0] neg_hi:[1,0,0]
	s_mov_b32 s27, 0xb5c83964
	v_pk_mul_f16 v57, v43, s28
	v_add_f16_e32 v1, v1, v33
	v_pk_add_f16 v42, v63, v42
	v_pk_fma_f16 v43, v64, s26, v55 neg_lo:[1,0,0] neg_hi:[1,0,0]
	s_mov_b32 s28, 0xb836bb29
	s_mov_b32 s29, 0x2de8bbdd
	v_add_f16_e32 v1, v34, v1
	v_pk_add_f16 v42, v42, v43
	v_pk_fma_f16 v43, v65, s27, v56 neg_lo:[1,0,0] neg_hi:[1,0,0]
	v_pk_mul_f16 v58, v44, s29
	s_mov_b32 s29, 0x3bf7b1e1
	v_add_f16_e32 v1, v35, v1
	v_pk_add_f16 v42, v42, v43
	v_pk_fma_f16 v43, v45, s28, v57 neg_lo:[1,0,0] neg_hi:[1,0,0]
	s_mov_b32 s30, 0xb9643bf7
	v_add_f16_e32 v1, v36, v1
	v_pk_add_f16 v42, v42, v43
	v_pk_fma_f16 v43, v46, s29, v58 neg_lo:[1,0,0] neg_hi:[1,0,0]
	;; [unrolled: 4-line block ×4, first 2 shown]
	v_add_f16_e32 v1, v39, v1
	v_pk_add_f16 v42, v42, v43
	v_pk_fma_f16 v43, v52, s33, v61 neg_lo:[1,0,0] neg_hi:[1,0,0]
	v_add_f16_e32 v1, v40, v1
	v_pk_add_f16 v42, v42, v43
	v_alignbit_b32 v44, v53, v42, 16
	v_alignbit_b32 v43, v42, v41, 16
	;; [unrolled: 1-line block ×3, first 2 shown]
	v_pack_b32_f16 v41, v1, v2
	v_pk_fma_f16 v1, v3, s25, v54
	v_pk_add_f16 v1, v63, v1
	v_pk_fma_f16 v2, v64, s26, v55
	v_pk_add_f16 v1, v1, v2
	;; [unrolled: 2-line block ×7, first 2 shown]
	v_pk_fma_f16 v2, v52, s33, v61
	v_mad_u32_u24 v78, v6, 34, 0
	v_pk_add_f16 v1, v1, v2
	v_pk_fma_f16 v2, v3, s34, v62
	ds_write_b128 v78, v[41:44]
	ds_write_b16 v78, v7 offset:16
	v_pk_add_f16 v2, v63, v2
	v_pk_fma_f16 v41, v64, s35, v66
	v_pk_add_f16 v2, v2, v41
	v_pk_fma_f16 v41, v65, s36, v67
	;; [unrolled: 2-line block ×7, first 2 shown]
	v_pk_fma_f16 v3, v3, s42, v73
	v_pk_add_f16 v2, v2, v41
	v_pk_add_f16 v3, v63, v3
	v_pk_fma_f16 v41, v64, s43, v74
	v_pk_add_f16 v3, v3, v41
	v_pk_fma_f16 v41, v65, s44, v75
	;; [unrolled: 2-line block ×7, first 2 shown]
	v_pk_add_f16 v3, v3, v41
	v_alignbit_b32 v1, v1, v1, 16
	v_alignbit_b32 v2, v2, v2, 16
	v_alignbit_b32 v3, v3, v3, 16
	ds_write_b128 v78, v[0:3] offset:18
.LBB0_13:
	s_or_b64 exec, exec, s[2:3]
	v_sub_f16_e32 v48, v10, v40
	v_add_f16_e32 v47, v5, v19
	v_sub_f16_e32 v3, v17, v39
	v_pk_mul_f16 v1, v48, s10 op_sel_hi:[0,1]
	v_add_f16_e32 v2, v11, v20
	v_pk_fma_f16 v10, v47, s4, v1 op_sel_hi:[0,1,1] neg_lo:[0,0,1] neg_hi:[0,0,1]
	v_pk_mul_f16 v17, v3, s14 op_sel_hi:[0,1]
	v_sub_f16_e32 v38, v22, v38
	v_pk_add_f16 v10, v4, v10 op_sel_hi:[0,1]
	v_pk_fma_f16 v22, v2, s5, v17 op_sel_hi:[0,1,1] neg_lo:[0,0,1] neg_hi:[0,0,1]
	v_add_f16_e32 v39, v12, v21
	v_pk_add_f16 v10, v10, v22
	v_pk_mul_f16 v22, v38, s16 op_sel_hi:[0,1]
	v_sub_f16_e32 v37, v25, v37
	v_pk_fma_f16 v25, v39, s6, v22 op_sel_hi:[0,1,1] neg_lo:[0,0,1] neg_hi:[0,0,1]
	v_add_f16_e32 v40, v13, v23
	v_pk_add_f16 v10, v10, v25
	v_pk_mul_f16 v25, v37, s18 op_sel_hi:[0,1]
	v_sub_f16_e32 v36, v28, v36
	v_pk_fma_f16 v28, v40, s7, v25 op_sel_hi:[0,1,1] neg_lo:[0,0,1] neg_hi:[0,0,1]
	v_pk_fma_f16 v1, v47, s4, v1 op_sel_hi:[0,1,1]
	v_add_f16_e32 v41, v14, v24
	v_pk_add_f16 v10, v10, v28
	v_pk_mul_f16 v28, v36, s20 op_sel_hi:[0,1]
	v_pk_add_f16 v1, v4, v1 op_sel_hi:[0,1]
	v_pk_fma_f16 v17, v2, s5, v17 op_sel_hi:[0,1,1]
	v_sub_f16_e32 v35, v30, v35
	v_pk_fma_f16 v30, v41, s15, v28 op_sel_hi:[0,1,1] neg_lo:[0,0,1] neg_hi:[0,0,1]
	v_pk_add_f16 v1, v1, v17
	v_pk_fma_f16 v17, v39, s6, v22 op_sel_hi:[0,1,1]
	v_add_f16_e32 v42, v15, v26
	v_pk_add_f16 v10, v10, v30
	v_pk_mul_f16 v30, v35, s21 op_sel_hi:[0,1]
	v_pk_add_f16 v1, v1, v17
	v_pk_fma_f16 v17, v40, s7, v25 op_sel_hi:[0,1,1]
	v_sub_f16_e32 v44, v31, v34
	v_pk_fma_f16 v31, v42, s17, v30 op_sel_hi:[0,1,1] neg_lo:[0,0,1] neg_hi:[0,0,1]
	v_pk_add_f16 v1, v1, v17
	v_pk_fma_f16 v17, v41, s15, v28 op_sel_hi:[0,1,1]
	v_add_f16_e32 v43, v16, v27
	v_pk_add_f16 v10, v10, v31
	v_pk_mul_f16 v31, v44, s22 op_sel_hi:[0,1]
	v_pk_add_f16 v1, v1, v17
	v_pk_fma_f16 v17, v42, s17, v30 op_sel_hi:[0,1,1]
	v_pk_add_f16 v1, v1, v17
	v_pk_fma_f16 v17, v43, s19, v31 op_sel_hi:[0,1,1]
	v_sub_f16_e32 v46, v32, v33
	v_pk_fma_f16 v32, v43, s19, v31 op_sel_hi:[0,1,1] neg_lo:[0,0,1] neg_hi:[0,0,1]
	v_pk_add_f16 v1, v1, v17
	v_lshl_add_u32 v17, v6, 1, 0
	v_pk_add_f16 v49, v10, v32
	s_waitcnt lgkmcnt(0)
	s_barrier
	ds_read_u16 v25, v17
	ds_read_u16 v34, v17 offset:374
	ds_read_u16 v33, v17 offset:748
	;; [unrolled: 1-line block ×7, first 2 shown]
	v_add_f16_e32 v45, v18, v29
	v_pk_mul_f16 v10, v46, s24 op_sel_hi:[0,1]
	v_pk_fma_f16 v50, v45, s23, v10 op_sel_hi:[0,1,1] neg_lo:[0,0,1] neg_hi:[0,0,1]
	v_pk_fma_f16 v10, v45, s23, v10 op_sel_hi:[0,1,1]
	v_pk_add_f16 v10, v1, v10
	v_pk_add_f16 v1, v49, v50
	s_waitcnt lgkmcnt(0)
	s_barrier
	s_and_saveexec_b64 s[2:3], s[0:1]
	s_cbranch_execz .LBB0_15
; %bb.14:
	v_pack_b32_f16 v50, v2, v2
	v_add_f16_e32 v2, v4, v5
	v_add_f16_e32 v2, v2, v11
	;; [unrolled: 1-line block ×13, first 2 shown]
	v_pack_b32_f16 v48, v48, v48
	v_add_f16_e32 v2, v21, v2
	s_mov_b32 s1, 0xb964b5c8
	v_pack_b32_f16 v47, v47, v47
	v_pack_b32_f16 v51, v3, v3
	v_add_f16_e32 v2, v20, v2
	s_mov_b32 s0, 0x39e93b76
	v_pk_mul_f16 v3, v48, s1
	s_mov_b32 s4, 0xbbf7b964
	v_perm_b32 v49, v4, v4, s11
	v_add_f16_e32 v5, v19, v2
	v_pk_fma_f16 v2, v47, s0, v3
	s_mov_b32 s1, 0x2de839e9
	v_pk_mul_f16 v4, v51, s4
	v_pack_b32_f16 v38, v38, v38
	v_pk_add_f16 v2, v49, v2
	v_pk_fma_f16 v11, v50, s1, v4
	s_mov_b32 s5, 0xba62bb29
	v_pack_b32_f16 v39, v39, v39
	v_pk_add_f16 v2, v2, v11
	s_mov_b32 s4, 0xb8d23722
	v_pk_mul_f16 v11, v38, s5
	v_pack_b32_f16 v37, v37, v37
	v_pk_fma_f16 v12, v39, s4, v11
	s_mov_b32 s6, 0xb1e1bbf7
	v_pack_b32_f16 v40, v40, v40
	v_pk_add_f16 v2, v2, v12
	s_mov_b32 s5, 0xbbdd2de8
	v_pk_mul_f16 v12, v37, s6
	v_pack_b32_f16 v36, v36, v36
	v_pk_fma_f16 v13, v40, s5, v12
	s_mov_b32 s7, 0x3836bbb2
	v_pack_b32_f16 v41, v41, v41
	v_pk_add_f16 v2, v2, v13
	s_mov_b32 s6, 0xbacdb461
	v_pk_mul_f16 v13, v36, s7
	v_pk_fma_f16 v3, v47, s0, v3 neg_lo:[0,0,1] neg_hi:[0,0,1]
	v_pack_b32_f16 v35, v35, v35
	v_pk_fma_f16 v14, v41, s6, v13
	s_mov_b32 s10, 0x3bb2ba62
	v_pk_add_f16 v3, v49, v3
	v_pk_fma_f16 v4, v50, s1, v4 neg_lo:[0,0,1] neg_hi:[0,0,1]
	v_pack_b32_f16 v42, v42, v42
	v_pk_add_f16 v2, v2, v14
	s_mov_b32 s7, 0xb461b8d2
	v_pk_mul_f16 v14, v35, s10
	v_pk_add_f16 v3, v3, v4
	v_pk_fma_f16 v4, v39, s4, v11 neg_lo:[0,0,1] neg_hi:[0,0,1]
	v_pack_b32_f16 v44, v44, v44
	v_pk_fma_f16 v15, v42, s7, v14
	s_mov_b32 s11, 0x3b29b836
	v_pk_add_f16 v3, v3, v4
	v_pk_fma_f16 v4, v40, s5, v12 neg_lo:[0,0,1] neg_hi:[0,0,1]
	v_pack_b32_f16 v43, v43, v43
	v_pk_add_f16 v2, v2, v15
	s_mov_b32 s10, 0x3722bacd
	v_pk_mul_f16 v15, v44, s11
	v_pk_add_f16 v3, v3, v4
	;; [unrolled: 11-line block ×3, first 2 shown]
	v_pk_fma_f16 v4, v43, s10, v15 neg_lo:[0,0,1] neg_hi:[0,0,1]
	v_pk_add_f16 v3, v3, v4
	v_pk_fma_f16 v4, v45, s11, v16 neg_lo:[0,0,1] neg_hi:[0,0,1]
	s_mov_b32 s1, 0xbbf7bb29
	v_pk_add_f16 v11, v3, v4
	s_mov_b32 s0, 0x2de83722
	v_pk_mul_f16 v4, v48, s1
	s_mov_b32 s4, 0xb1e1ba62
	v_pk_fma_f16 v3, v47, s0, v4
	s_mov_b32 s1, 0xbbddb8d2
	v_pk_mul_f16 v12, v51, s4
	v_pk_add_f16 v3, v49, v3
	v_pk_fma_f16 v13, v50, s1, v12
	s_mov_b32 s5, 0x3bb231e1
	v_pk_add_f16 v3, v3, v13
	s_mov_b32 s4, 0xb461bbdd
	v_pk_mul_f16 v13, v38, s5
	v_pk_fma_f16 v14, v39, s4, v13
	s_mov_b32 s6, 0x35c83bb2
	v_pk_add_f16 v3, v3, v14
	s_mov_b32 s5, 0x3b76b461
	v_pk_mul_f16 v14, v37, s6
	;; [unrolled: 5-line block ×3, first 2 shown]
	v_pk_fma_f16 v4, v47, s0, v4 neg_lo:[0,0,1] neg_hi:[0,0,1]
	v_pk_fma_f16 v18, v45, s11, v16
	v_pk_fma_f16 v16, v41, s6, v15
	s_mov_b32 s10, 0xb836b5c8
	v_pk_add_f16 v4, v49, v4
	v_pk_fma_f16 v12, v50, s1, v12 neg_lo:[0,0,1] neg_hi:[0,0,1]
	v_pk_add_f16 v3, v3, v16
	s_mov_b32 s7, 0xbacd3b76
	v_pk_mul_f16 v16, v35, s10
	v_pk_add_f16 v4, v4, v12
	v_pk_fma_f16 v12, v39, s4, v13 neg_lo:[0,0,1] neg_hi:[0,0,1]
	v_pk_add_f16 v2, v2, v18
	v_pk_fma_f16 v18, v42, s7, v16
	s_mov_b32 s11, 0x3a62bbf7
	v_pk_add_f16 v4, v4, v12
	v_pk_fma_f16 v12, v40, s5, v14 neg_lo:[0,0,1] neg_hi:[0,0,1]
	v_pk_add_f16 v3, v3, v18
	s_mov_b32 s10, 0xb8d22de8
	v_pk_mul_f16 v18, v44, s11
	v_pk_add_f16 v4, v4, v12
	v_pk_fma_f16 v12, v41, s6, v15 neg_lo:[0,0,1] neg_hi:[0,0,1]
	v_pk_fma_f16 v19, v43, s10, v18
	s_mov_b32 s14, 0x3964b836
	v_pk_add_f16 v4, v4, v12
	v_pk_fma_f16 v12, v42, s7, v16 neg_lo:[0,0,1] neg_hi:[0,0,1]
	v_pk_add_f16 v3, v3, v19
	s_mov_b32 s11, 0x39e9bacd
	v_pk_mul_f16 v19, v46, s14
	v_pk_add_f16 v4, v4, v12
	v_pk_fma_f16 v12, v43, s10, v18 neg_lo:[0,0,1] neg_hi:[0,0,1]
	s_mov_b32 s1, 0xba62bbb2
	v_pk_add_f16 v4, v4, v12
	v_pk_fma_f16 v12, v45, s11, v19 neg_lo:[0,0,1] neg_hi:[0,0,1]
	s_mov_b32 s0, 0xb8d2b461
	v_pk_mul_f16 v13, v48, s1
	s_mov_b32 s4, 0x3bb23836
	v_pk_add_f16 v12, v4, v12
	v_pk_fma_f16 v4, v47, s0, v13
	s_mov_b32 s1, 0xb461bacd
	v_pk_mul_f16 v14, v51, s4
	v_pk_add_f16 v4, v49, v4
	v_pk_fma_f16 v15, v50, s1, v14
	s_mov_b32 s5, 0xb5c83964
	v_pk_add_f16 v4, v4, v15
	s_mov_b32 s4, 0x3b7639e9
	v_pk_mul_f16 v15, v38, s5
	v_pk_fma_f16 v16, v39, s4, v15
	s_mov_b32 s6, 0xb836bb29
	v_pk_add_f16 v4, v4, v16
	s_mov_b32 s5, 0xbacd3722
	v_pk_mul_f16 v16, v37, s6
	;; [unrolled: 5-line block ×3, first 2 shown]
	v_pk_fma_f16 v13, v47, s0, v13 neg_lo:[0,0,1] neg_hi:[0,0,1]
	v_pk_fma_f16 v20, v45, s11, v19
	v_pk_fma_f16 v19, v41, s6, v18
	s_mov_b32 s10, 0xb9643bf7
	v_pk_add_f16 v13, v49, v13
	v_pk_fma_f16 v14, v50, s1, v14 neg_lo:[0,0,1] neg_hi:[0,0,1]
	v_pk_add_f16 v4, v4, v19
	s_mov_b32 s7, 0x39e92de8
	v_pk_mul_f16 v19, v35, s10
	v_pk_add_f16 v13, v13, v14
	v_pk_fma_f16 v14, v39, s4, v15 neg_lo:[0,0,1] neg_hi:[0,0,1]
	v_pk_add_f16 v3, v3, v20
	v_pk_fma_f16 v20, v42, s7, v19
	s_mov_b32 s11, 0xb1e1b5c8
	v_pk_add_f16 v13, v13, v14
	v_pk_fma_f16 v14, v40, s5, v16 neg_lo:[0,0,1] neg_hi:[0,0,1]
	v_pk_add_f16 v4, v4, v20
	s_mov_b32 s10, 0xbbdd3b76
	v_pk_mul_f16 v20, v44, s11
	v_pk_add_f16 v13, v13, v14
	v_pk_fma_f16 v14, v41, s6, v18 neg_lo:[0,0,1] neg_hi:[0,0,1]
	v_pk_fma_f16 v21, v43, s10, v20
	s_mov_b32 s14, 0x3b29ba62
	v_pk_add_f16 v13, v13, v14
	v_pk_fma_f16 v14, v42, s7, v19 neg_lo:[0,0,1] neg_hi:[0,0,1]
	v_pk_add_f16 v4, v4, v21
	s_mov_b32 s11, 0x3722b8d2
	v_pk_mul_f16 v21, v46, s14
	v_pk_add_f16 v13, v13, v14
	v_pk_fma_f16 v14, v43, s10, v20 neg_lo:[0,0,1] neg_hi:[0,0,1]
	v_pk_add_f16 v13, v13, v14
	v_pk_fma_f16 v14, v45, s11, v21 neg_lo:[0,0,1] neg_hi:[0,0,1]
	v_pk_fma_f16 v23, v45, s11, v21
	v_pk_add_f16 v13, v13, v14
	v_lshl_add_u32 v14, v6, 5, v17
	v_pk_add_f16 v4, v4, v23
	ds_write_b16 v14, v5
	v_alignbit_b32 v5, v10, v10, 16
	ds_write_b128 v14, v[2:5] offset:2
	v_alignbit_b32 v2, v13, v13, 16
	v_alignbit_b32 v3, v12, v12, 16
	;; [unrolled: 1-line block ×3, first 2 shown]
	ds_write_b128 v14, v[1:4] offset:18
.LBB0_15:
	s_or_b64 exec, exec, s[2:3]
	s_movk_i32 s0, 0xf1
	v_mul_lo_u16_sdwa v2, v6, s0 dst_sel:DWORD dst_unused:UNUSED_PAD src0_sel:BYTE_0 src1_sel:DWORD
	v_lshrrev_b16_e32 v14, 12, v2
	v_mul_lo_u16_e32 v2, 17, v14
	v_sub_u16_e32 v15, v6, v2
	v_mov_b32_e32 v2, 7
	v_mul_u32_u24_sdwa v2, v15, v2 dst_sel:DWORD dst_unused:UNUSED_PAD src0_sel:BYTE_0 src1_sel:DWORD
	v_lshlrev_b32_e32 v16, 2, v2
	s_waitcnt lgkmcnt(0)
	s_barrier
	global_load_dwordx4 v[2:5], v16, s[8:9]
	global_load_dwordx3 v[11:13], v16, s[8:9] offset:16
	ds_read_u16 v18, v17
	ds_read_u16 v16, v17 offset:374
	ds_read_u16 v20, v17 offset:748
	;; [unrolled: 1-line block ×7, first 2 shown]
	v_mov_b32_e32 v24, 1
	v_mul_u32_u24_e32 v14, 0x110, v14
	v_lshlrev_b32_sdwa v15, v24, v15 dst_sel:DWORD dst_unused:UNUSED_PAD src0_sel:DWORD src1_sel:BYTE_0
	v_add3_u32 v24, 0, v14, v15
	s_movk_i32 s0, 0x39a8
	s_mov_b32 s1, 0xb9a8
	s_waitcnt vmcnt(0) lgkmcnt(0)
	s_barrier
	v_mul_f16_sdwa v14, v16, v2 dst_sel:DWORD dst_unused:UNUSED_PAD src0_sel:DWORD src1_sel:WORD_1
	v_mul_f16_sdwa v15, v34, v2 dst_sel:DWORD dst_unused:UNUSED_PAD src0_sel:DWORD src1_sel:WORD_1
	;; [unrolled: 1-line block ×13, first 2 shown]
	v_fma_f16 v14, v34, v2, -v14
	v_fma_f16 v2, v16, v2, v15
	v_fma_f16 v15, v33, v3, -v29
	v_fma_f16 v3, v20, v3, v35
	v_fma_f16 v16, v32, v4, -v36
	v_fma_f16 v4, v21, v4, v37
	v_fma_f16 v20, v22, v5, -v38
	v_fma_f16 v29, v31, v11, -v39
	v_fma_f16 v11, v23, v11, v40
	v_fma_f16 v21, v30, v12, -v41
	v_fma_f16 v12, v26, v12, v42
	v_fma_f16 v23, v28, v13, -v43
	v_fma_f16 v13, v27, v13, v44
	v_sub_f16_e32 v26, v25, v20
	v_sub_f16_e32 v20, v15, v21
	;; [unrolled: 1-line block ×7, first 2 shown]
	v_fma_f16 v29, v25, 2.0, -v26
	v_fma_f16 v15, v15, 2.0, -v20
	;; [unrolled: 1-line block ×6, first 2 shown]
	v_sub_f16_e32 v16, v26, v21
	v_sub_f16_e32 v13, v12, v13
	v_add_f16_e32 v31, v11, v27
	v_sub_f16_e32 v15, v29, v15
	v_fma_f16 v32, v26, 2.0, -v16
	v_sub_f16_e32 v25, v14, v2
	v_fma_f16 v2, v12, 2.0, -v13
	;; [unrolled: 2-line block ×3, first 2 shown]
	v_fma_f16 v12, v13, s0, v16
	v_fma_f16 v33, v29, 2.0, -v15
	v_fma_f16 v14, v14, 2.0, -v25
	v_mul_f16_e32 v29, 0x39a8, v2
	v_fma_f16 v2, v2, s1, v32
	v_mul_f16_e32 v26, 0x39a8, v13
	v_mul_f16_e32 v30, 0x39a8, v11
	v_sub_f16_e32 v4, v15, v28
	v_fma_f16 v13, v31, s1, v12
	v_sub_f16_e32 v12, v33, v14
	v_fma_f16 v11, v11, s1, v2
	s_movk_i32 s0, 0x88
	v_mul_f16_e32 v27, 0x39a8, v31
	v_fma_f16 v15, v15, 2.0, -v4
	v_fma_f16 v14, v16, 2.0, -v13
	;; [unrolled: 1-line block ×4, first 2 shown]
	v_cmp_gt_u32_e64 s[0:1], s0, v6
	ds_write_b16 v24, v2
	ds_write_b16 v24, v16 offset:34
	ds_write_b16 v24, v15 offset:68
	;; [unrolled: 1-line block ×7, first 2 shown]
	s_waitcnt lgkmcnt(0)
	s_barrier
	s_and_saveexec_b64 s[2:3], s[0:1]
	s_cbranch_execz .LBB0_17
; %bb.16:
	ds_read_u16 v7, v17 offset:2176
	ds_read_u16 v0, v17 offset:2448
	;; [unrolled: 1-line block ×3, first 2 shown]
	ds_read_u16 v2, v17
	ds_read_u16 v16, v17 offset:272
	ds_read_u16 v15, v17 offset:544
	;; [unrolled: 1-line block ×7, first 2 shown]
	s_mov_b32 s4, 0x5040100
	s_waitcnt lgkmcnt(8)
	v_perm_b32 v0, v31, v0, s4
.LBB0_17:
	s_or_b64 exec, exec, s[2:3]
	v_mul_f16_sdwa v22, v22, v5 dst_sel:DWORD dst_unused:UNUSED_PAD src0_sel:DWORD src1_sel:WORD_1
	v_fma_f16 v5, v19, v5, v22
	v_sub_f16_e32 v5, v18, v5
	v_fma_f16 v18, v18, 2.0, -v5
	v_fma_f16 v3, v3, 2.0, -v21
	v_sub_f16_e32 v21, v18, v3
	v_add_f16_e32 v31, v5, v20
	v_fma_f16 v3, v18, 2.0, -v21
	v_fma_f16 v19, v5, 2.0, -v31
	;; [unrolled: 1-line block ×3, first 2 shown]
	v_sub_f16_e32 v18, v3, v5
	v_sub_f16_e32 v5, v19, v30
	v_add_f16_e32 v5, v29, v5
	v_add_f16_e32 v20, v31, v27
	v_fma_f16 v23, v19, 2.0, -v5
	v_add_f16_e32 v19, v21, v25
	v_add_f16_e32 v20, v26, v20
	v_fma_f16 v3, v3, 2.0, -v18
	v_fma_f16 v22, v21, 2.0, -v19
	;; [unrolled: 1-line block ×3, first 2 shown]
	s_waitcnt lgkmcnt(0)
	s_barrier
	ds_write_b16 v24, v3
	ds_write_b16 v24, v23 offset:34
	ds_write_b16 v24, v22 offset:68
	;; [unrolled: 1-line block ×7, first 2 shown]
	s_waitcnt lgkmcnt(0)
	s_barrier
	s_and_saveexec_b64 s[2:3], s[0:1]
	s_cbranch_execnz .LBB0_20
; %bb.18:
	s_or_b64 exec, exec, s[2:3]
	s_and_b64 s[0:1], vcc, s[0:1]
	s_and_saveexec_b64 s[2:3], s[0:1]
	s_cbranch_execnz .LBB0_21
.LBB0_19:
	s_endpgm
.LBB0_20:
	ds_read_u16 v10, v17 offset:2176
	ds_read_u16 v1, v17 offset:2448
	;; [unrolled: 1-line block ×3, first 2 shown]
	ds_read_u16 v3, v17
	ds_read_u16 v23, v17 offset:272
	ds_read_u16 v22, v17 offset:544
	;; [unrolled: 1-line block ×7, first 2 shown]
	s_mov_b32 s4, 0x5040100
	s_waitcnt lgkmcnt(8)
	v_perm_b32 v1, v24, v1, s4
	s_or_b64 exec, exec, s[2:3]
	s_and_b64 s[0:1], vcc, s[0:1]
	s_and_saveexec_b64 s[2:3], s[0:1]
	s_cbranch_execz .LBB0_19
.LBB0_21:
	v_mul_u32_u24_e32 v17, 10, v6
	v_lshlrev_b32_e32 v17, 2, v17
	global_load_dwordx2 v[32:33], v17, s[8:9] offset:508
	global_load_dwordx4 v[24:27], v17, s[8:9] offset:476
	global_load_dwordx4 v[28:31], v17, s[8:9] offset:492
	v_lshrrev_b32_e32 v17, 16, v0
	s_movk_i32 s6, 0x3beb
	s_mov_b32 s5, 0xb482
	s_mov_b32 s7, 0xbb47
	s_movk_i32 s8, 0x3853
	s_movk_i32 s9, 0x3a0c
	s_mov_b32 s1, 0xb08e
	s_mov_b32 s0, 0xbbad
	s_movk_i32 s2, 0x36a6
	;; [unrolled: 4-line block ×3, first 2 shown]
	s_mov_b32 s14, 0xb853
	v_add_co_u32_e32 v8, vcc, s12, v8
	s_waitcnt vmcnt(2)
	v_lshrrev_b32_e32 v35, 16, v33
	v_mul_f16_sdwa v36, v1, v33 dst_sel:DWORD dst_unused:UNUSED_PAD src0_sel:WORD_1 src1_sel:DWORD
	s_waitcnt vmcnt(1)
	v_lshrrev_b32_e32 v37, 16, v24
	s_waitcnt lgkmcnt(6)
	v_mul_f16_e32 v41, v23, v24
	v_lshrrev_b32_e32 v34, 16, v32
	v_lshrrev_b32_e32 v38, 16, v25
	;; [unrolled: 1-line block ×3, first 2 shown]
	v_mul_f16_e32 v42, v1, v32
	s_waitcnt lgkmcnt(5)
	v_mul_f16_e32 v43, v22, v25
	s_waitcnt vmcnt(0)
	v_lshrrev_b32_e32 v44, 16, v28
	v_lshrrev_b32_e32 v45, 16, v29
	;; [unrolled: 1-line block ×3, first 2 shown]
	s_waitcnt lgkmcnt(4)
	v_mul_f16_e32 v49, v21, v26
	s_waitcnt lgkmcnt(0)
	v_mul_f16_e32 v50, v20, v30
	v_mul_f16_e32 v53, v5, v28
	v_fma_f16 v36, v17, v35, v36
	v_fma_f16 v41, v16, v37, v41
	v_mul_f16_e32 v23, v23, v37
	v_mul_f16_sdwa v35, v1, v35 dst_sel:DWORD dst_unused:UNUSED_PAD src0_sel:WORD_1 src1_sel:DWORD
	v_lshrrev_b32_e32 v40, 16, v27
	v_lshrrev_b32_e32 v47, 16, v31
	v_mul_f16_e32 v48, v10, v31
	v_mul_f16_e32 v51, v18, v27
	;; [unrolled: 1-line block ×3, first 2 shown]
	v_fma_f16 v37, v0, v34, v42
	v_fma_f16 v42, v15, v38, v43
	v_mul_f16_e32 v22, v22, v38
	v_mul_f16_e32 v1, v1, v34
	v_fma_f16 v38, v14, v39, v49
	v_mul_f16_e32 v21, v21, v39
	v_fma_f16 v39, v13, v46, v50
	;; [unrolled: 2-line block ×3, first 2 shown]
	v_mul_f16_e32 v5, v5, v44
	v_mul_f16_e32 v19, v19, v45
	v_add_f16_e32 v44, v36, v41
	v_fma_f16 v16, v16, v24, -v23
	v_fma_f16 v17, v17, v33, -v35
	v_fma_f16 v34, v7, v47, v48
	v_mul_f16_e32 v10, v10, v47
	v_fma_f16 v43, v12, v40, v51
	v_mul_f16_e32 v18, v18, v40
	v_fma_f16 v40, v4, v45, v52
	v_add_f16_e32 v23, v37, v42
	v_fma_f16 v15, v15, v25, -v22
	v_fma_f16 v0, v0, v32, -v1
	;; [unrolled: 1-line block ×4, first 2 shown]
	v_mul_f16_e32 v11, 0xb08e, v44
	v_sub_f16_e32 v19, v16, v17
	v_add_f16_e32 v1, v34, v38
	v_fma_f16 v14, v14, v26, -v21
	v_fma_f16 v7, v7, v31, -v10
	;; [unrolled: 1-line block ×3, first 2 shown]
	v_mul_f16_e32 v20, 0xbbad, v23
	v_sub_f16_e32 v21, v15, v0
	v_fma_f16 v30, v19, s6, v11
	v_add_f16_e32 v10, v39, v43
	v_fma_f16 v12, v12, v27, -v18
	v_mul_f16_e32 v22, 0x36a6, v1
	v_sub_f16_e32 v24, v14, v7
	v_fma_f16 v31, v21, s5, v20
	v_add_f16_e32 v30, v3, v30
	v_add_f16_e32 v18, v40, v46
	v_mul_f16_e32 v25, 0x3abb, v10
	v_sub_f16_e32 v26, v12, v13
	v_fma_f16 v32, v24, s7, v22
	v_add_f16_e32 v30, v30, v31
	v_mul_f16_e32 v27, 0xb93d, v18
	v_sub_f16_e32 v28, v5, v4
	v_fma_f16 v33, v26, s8, v25
	v_add_f16_e32 v30, v30, v32
	v_sub_f16_e32 v31, v41, v36
	v_add_f16_e32 v29, v17, v16
	v_fma_f16 v35, v28, s9, v27
	v_add_f16_e32 v30, v30, v33
	v_mul_f16_e32 v32, 0xbbeb, v31
	v_sub_f16_e32 v45, v42, v37
	v_add_f16_e32 v30, v30, v35
	v_fma_f16 v33, v29, s1, v32
	v_add_f16_e32 v35, v0, v15
	v_mul_f16_e32 v47, 0x3482, v45
	v_add_f16_e32 v33, v2, v33
	v_fma_f16 v48, v35, s0, v47
	v_sub_f16_e32 v49, v38, v34
	v_add_f16_e32 v33, v33, v48
	v_add_f16_e32 v48, v7, v14
	v_mul_f16_e32 v50, 0x3b47, v49
	v_fma_f16 v51, v48, s2, v50
	v_sub_f16_e32 v52, v43, v39
	v_add_f16_e32 v33, v33, v51
	v_add_f16_e32 v51, v13, v12
	v_mul_f16_e32 v53, 0xb853, v52
	;; [unrolled: 5-line block ×3, first 2 shown]
	v_fma_f16 v57, v54, s4, v56
	v_add_f16_e32 v33, v33, v57
	v_mul_f16_e32 v57, 0xb93d, v44
	v_fma_f16 v58, v19, s9, v57
	v_mul_f16_e32 v59, 0xb08e, v23
	v_add_f16_e32 v58, v3, v58
	v_fma_f16 v60, v21, s10, v59
	v_add_f16_e32 v58, v58, v60
	v_mul_f16_e32 v60, 0x3abb, v1
	v_fma_f16 v61, v24, s8, v60
	v_add_f16_e32 v58, v58, v61
	v_mul_f16_e32 v61, 0xbbad, v10
	;; [unrolled: 3-line block ×4, first 2 shown]
	v_fma_f16 v64, v29, s4, v63
	v_mul_f16_e32 v65, 0x3beb, v45
	v_add_f16_e32 v64, v2, v64
	v_fma_f16 v66, v35, s1, v65
	v_add_f16_e32 v64, v64, v66
	v_mul_f16_e32 v66, 0xb853, v49
	v_fma_f16 v67, v48, s3, v66
	v_add_f16_e32 v64, v64, v67
	v_mul_f16_e32 v67, 0xb482, v52
	;; [unrolled: 3-line block ×4, first 2 shown]
	v_fma_f16 v70, v19, s11, v69
	v_mul_f16_e32 v71, 0x3abb, v23
	v_add_f16_e32 v70, v3, v70
	v_fma_f16 v72, v21, s14, v71
	v_add_f16_e32 v70, v70, v72
	v_mul_f16_e32 v72, 0xb93d, v1
	v_fma_f16 v11, v19, s10, v11
	v_add_f16_e32 v16, v2, v16
	v_fma_f16 v73, v24, s9, v72
	v_fma_f16 v71, v21, s8, v71
	s_movk_i32 s8, 0x3b47
	v_add_f16_e32 v11, v3, v11
	v_fma_f16 v20, v21, s11, v20
	v_add_f16_e32 v15, v16, v15
	v_add_f16_e32 v70, v70, v73
	v_mul_f16_e32 v73, 0x36a6, v10
	v_add_f16_e32 v11, v11, v20
	v_fma_f16 v20, v24, s8, v22
	v_add_f16_e32 v14, v15, v14
	v_fma_f16 v74, v26, s7, v73
	s_mov_b32 s7, 0xba0c
	v_add_f16_e32 v11, v11, v20
	v_fma_f16 v20, v26, s14, v25
	v_add_f16_e32 v12, v14, v12
	v_add_f16_e32 v11, v11, v20
	v_fma_f16 v20, v28, s7, v27
	v_add_f16_e32 v5, v12, v5
	v_add_f16_e32 v11, v11, v20
	v_fma_f16 v20, v29, s1, -v32
	v_add_f16_e32 v4, v4, v5
	v_add_f16_e32 v20, v2, v20
	v_fma_f16 v22, v35, s0, -v47
	;; [unrolled: 3-line block ×5, first 2 shown]
	v_add_f16_e32 v4, v17, v0
	v_add_f16_e32 v0, v3, v41
	v_fma_f16 v57, v19, s7, v57
	v_add_f16_e32 v20, v20, v22
	v_mul_f16_e32 v22, 0xbb47, v19
	v_add_f16_e32 v0, v0, v42
	v_add_f16_e32 v57, v3, v57
	v_fma_f16 v59, v21, s6, v59
	v_fma_f16 v25, v44, s2, v22
	v_mul_f16_e32 v27, 0xba0c, v21
	v_add_f16_e32 v0, v0, v38
	v_add_f16_e32 v57, v57, v59
	v_fma_f16 v59, v24, s14, v60
	v_add_f16_e32 v25, v3, v25
	v_fma_f16 v32, v23, s4, v27
	v_add_f16_e32 v0, v0, v43
	v_add_f16_e32 v57, v57, v59
	v_fma_f16 v59, v26, s5, v61
	v_add_f16_e32 v25, v25, v32
	v_mul_f16_e32 v32, 0x3482, v24
	v_add_f16_e32 v0, v0, v46
	v_add_f16_e32 v57, v57, v59
	v_fma_f16 v59, v28, s8, v62
	v_fma_f16 v47, v1, s0, v32
	v_add_f16_e32 v0, v40, v0
	v_add_f16_e32 v57, v57, v59
	v_fma_f16 v59, v29, s4, -v63
	v_add_f16_e32 v25, v25, v47
	v_mul_f16_e32 v47, 0x3beb, v26
	v_add_f16_e32 v0, v39, v0
	v_add_f16_e32 v59, v2, v59
	v_fma_f16 v60, v35, s1, -v65
	v_fma_f16 v50, v10, s1, v47
	v_add_f16_e32 v0, v34, v0
	v_add_f16_e32 v59, v59, v60
	v_fma_f16 v60, v48, s3, -v66
	v_add_f16_e32 v25, v25, v50
	v_mul_f16_e32 v50, 0x3853, v28
	v_add_f16_e32 v0, v37, v0
	v_add_f16_e32 v59, v59, v60
	v_fma_f16 v60, v51, s0, -v67
	v_fma_f16 v53, v18, s3, v50
	v_add_f16_e32 v5, v36, v0
	v_fma_f16 v0, v44, s2, -v22
	v_add_f16_e32 v59, v59, v60
	v_fma_f16 v60, v54, s2, -v68
	v_add_f16_e32 v25, v25, v53
	v_mul_f16_e32 v53, 0xbb47, v31
	v_add_f16_e32 v0, v3, v0
	v_fma_f16 v7, v23, s4, -v27
	v_add_f16_e32 v59, v59, v60
	v_fma_f16 v56, v29, s2, -v53
	v_mul_f16_e32 v60, 0xba0c, v45
	v_add_f16_e32 v0, v0, v7
	v_fma_f16 v7, v1, s0, -v32
	v_add_f16_e32 v56, v2, v56
	v_fma_f16 v61, v35, s4, -v60
	v_add_f16_e32 v0, v0, v7
	v_fma_f16 v7, v10, s1, -v47
	v_add_f16_e32 v56, v56, v61
	v_mul_f16_e32 v61, 0x3482, v49
	v_add_f16_e32 v0, v0, v7
	v_fma_f16 v7, v18, s3, -v50
	v_fma_f16 v62, v48, s0, -v61
	v_add_f16_e32 v12, v0, v7
	v_fma_f16 v0, v29, s2, v53
	v_add_f16_e32 v56, v56, v62
	v_mul_f16_e32 v62, 0x3beb, v52
	v_add_f16_e32 v0, v2, v0
	v_fma_f16 v7, v35, s4, v60
	v_fma_f16 v63, v51, s1, -v62
	v_add_f16_e32 v0, v0, v7
	v_fma_f16 v7, v48, s0, v61
	v_add_f16_e32 v56, v56, v63
	v_mul_f16_e32 v63, 0x3853, v55
	v_add_f16_e32 v0, v0, v7
	v_fma_f16 v7, v51, s1, v62
	v_add_f16_e32 v70, v70, v74
	v_mul_f16_e32 v74, 0xb08e, v18
	v_fma_f16 v69, v19, s5, v69
	v_fma_f16 v65, v54, s3, -v63
	v_mul_f16_e32 v19, 0xb853, v19
	v_add_f16_e32 v0, v0, v7
	v_fma_f16 v7, v54, s3, v63
	v_fma_f16 v75, v28, s6, v74
	v_add_f16_e32 v69, v3, v69
	v_add_f16_e32 v56, v56, v65
	v_fma_f16 v65, v44, s3, v19
	v_mul_f16_e32 v21, 0xbb47, v21
	v_add_f16_e32 v13, v0, v7
	v_fma_f16 v0, v44, s3, -v19
	v_add_f16_e32 v70, v70, v75
	v_mul_f16_e32 v75, 0xb482, v31
	v_add_f16_e32 v69, v69, v71
	v_fma_f16 v71, v24, s7, v72
	v_add_f16_e32 v65, v3, v65
	v_fma_f16 v66, v23, s2, v21
	v_mul_f16_e32 v24, 0xbbeb, v24
	v_add_f16_e32 v0, v3, v0
	v_fma_f16 v3, v23, s2, -v21
	v_fma_f16 v76, v29, s0, v75
	v_mul_f16_e32 v77, 0x3853, v45
	v_add_f16_e32 v69, v69, v71
	v_fma_f16 v71, v26, s8, v73
	v_add_f16_e32 v65, v65, v66
	v_fma_f16 v66, v1, s1, v24
	v_mul_f16_e32 v26, 0xba0c, v26
	v_add_f16_e32 v0, v0, v3
	v_fma_f16 v1, v1, s1, -v24
	v_add_f16_e32 v76, v2, v76
	v_fma_f16 v78, v35, s3, v77
	v_add_f16_e32 v69, v69, v71
	v_fma_f16 v71, v28, s10, v74
	v_mul_f16_e32 v28, 0xb482, v28
	v_add_f16_e32 v0, v0, v1
	v_fma_f16 v1, v10, s4, -v26
	v_add_f16_e32 v76, v76, v78
	v_mul_f16_e32 v78, 0xba0c, v49
	v_mul_f16_e32 v31, 0xb853, v31
	v_add_f16_e32 v0, v0, v1
	v_fma_f16 v1, v18, s0, -v28
	v_fma_f16 v79, v48, s4, v78
	v_mul_f16_e32 v45, 0xbb47, v45
	v_add_f16_e32 v3, v0, v1
	v_fma_f16 v0, v29, s3, v31
	v_add_f16_e32 v76, v76, v79
	v_mul_f16_e32 v79, 0x3b47, v52
	v_mul_f16_e32 v49, 0xbbeb, v49
	v_add_f16_e32 v0, v2, v0
	v_fma_f16 v1, v35, s2, v45
	v_fma_f16 v80, v51, s2, v79
	v_add_f16_e32 v65, v65, v66
	v_fma_f16 v66, v10, s4, v26
	v_mul_f16_e32 v52, 0xba0c, v52
	v_add_f16_e32 v0, v0, v1
	v_fma_f16 v1, v48, s1, v49
	v_add_f16_e32 v76, v76, v80
	v_mul_f16_e32 v80, 0xbbeb, v55
	v_add_f16_e32 v65, v65, v66
	v_fma_f16 v66, v18, s0, v28
	v_mul_f16_e32 v55, 0xb482, v55
	v_add_f16_e32 v0, v0, v1
	v_fma_f16 v1, v51, s4, v52
	v_add_f16_e32 v69, v69, v71
	v_fma_f16 v71, v29, s0, -v75
	v_add_f16_e32 v65, v65, v66
	v_fma_f16 v66, v29, s3, -v31
	v_add_f16_e32 v0, v0, v1
	v_fma_f16 v1, v54, s0, v55
	v_add_f16_e32 v71, v2, v71
	v_add_f16_e32 v66, v2, v66
	v_fma_f16 v67, v35, s2, -v45
	v_add_f16_e32 v2, v0, v1
	v_mov_b32_e32 v7, 0
	v_mov_b32_e32 v0, s13
	v_add_f16_e32 v66, v66, v67
	v_fma_f16 v67, v48, s1, -v49
	v_addc_co_u32_e32 v9, vcc, v0, v9, vcc
	v_lshlrev_b64 v[0:1], 2, v[6:7]
	v_add_f16_e32 v66, v66, v67
	v_fma_f16 v67, v51, s4, -v52
	v_add_f16_e32 v66, v66, v67
	v_fma_f16 v67, v54, s0, -v55
	v_add_co_u32_e32 v0, vcc, v8, v0
	v_fma_f16 v72, v35, s3, -v77
	v_add_f16_e32 v66, v66, v67
	v_addc_co_u32_e32 v1, vcc, v9, v1, vcc
	v_pack_b32_f16 v4, v4, v5
	v_add_f16_e32 v71, v71, v72
	v_fma_f16 v72, v48, s4, -v78
	global_store_dword v[0:1], v4, off
	v_pack_b32_f16 v4, v66, v65
	v_add_f16_e32 v71, v71, v72
	v_fma_f16 v72, v51, s2, -v79
	global_store_dword v[0:1], v4, off offset:544
	v_pack_b32_f16 v4, v56, v25
	v_add_f16_e32 v71, v71, v72
	v_fma_f16 v72, v54, s1, -v80
	global_store_dword v[0:1], v4, off offset:1088
	v_pack_b32_f16 v4, v20, v11
	v_fma_f16 v81, v54, s1, v80
	v_add_f16_e32 v71, v71, v72
	global_store_dword v[0:1], v4, off offset:1632
	v_pack_b32_f16 v4, v59, v57
	v_add_f16_e32 v76, v76, v81
	global_store_dword v[0:1], v4, off offset:2176
	v_pack_b32_f16 v4, v71, v69
	global_store_dword v[0:1], v4, off offset:2720
	v_pack_b32_f16 v4, v76, v70
	global_store_dword v[0:1], v4, off offset:3264
	v_pack_b32_f16 v4, v64, v58
	global_store_dword v[0:1], v4, off offset:3808
	v_add_co_u32_e32 v0, vcc, 0x1000, v0
	v_pack_b32_f16 v4, v33, v30
	v_addc_co_u32_e32 v1, vcc, 0, v1, vcc
	global_store_dword v[0:1], v4, off offset:256
	v_pack_b32_f16 v4, v13, v12
	v_pack_b32_f16 v2, v2, v3
	global_store_dword v[0:1], v4, off offset:800
	global_store_dword v[0:1], v2, off offset:1344
	s_endpgm
	.section	.rodata,"a",@progbits
	.p2align	6, 0x0
	.amdhsa_kernel fft_rtc_fwd_len1496_factors_17_8_11_wgs_187_tpt_187_halfLds_half_ip_CI_unitstride_sbrr_dirReg
		.amdhsa_group_segment_fixed_size 0
		.amdhsa_private_segment_fixed_size 0
		.amdhsa_kernarg_size 88
		.amdhsa_user_sgpr_count 6
		.amdhsa_user_sgpr_private_segment_buffer 1
		.amdhsa_user_sgpr_dispatch_ptr 0
		.amdhsa_user_sgpr_queue_ptr 0
		.amdhsa_user_sgpr_kernarg_segment_ptr 1
		.amdhsa_user_sgpr_dispatch_id 0
		.amdhsa_user_sgpr_flat_scratch_init 0
		.amdhsa_user_sgpr_private_segment_size 0
		.amdhsa_uses_dynamic_stack 0
		.amdhsa_system_sgpr_private_segment_wavefront_offset 0
		.amdhsa_system_sgpr_workgroup_id_x 1
		.amdhsa_system_sgpr_workgroup_id_y 0
		.amdhsa_system_sgpr_workgroup_id_z 0
		.amdhsa_system_sgpr_workgroup_info 0
		.amdhsa_system_vgpr_workitem_id 0
		.amdhsa_next_free_vgpr 82
		.amdhsa_next_free_sgpr 50
		.amdhsa_reserve_vcc 1
		.amdhsa_reserve_flat_scratch 0
		.amdhsa_float_round_mode_32 0
		.amdhsa_float_round_mode_16_64 0
		.amdhsa_float_denorm_mode_32 3
		.amdhsa_float_denorm_mode_16_64 3
		.amdhsa_dx10_clamp 1
		.amdhsa_ieee_mode 1
		.amdhsa_fp16_overflow 0
		.amdhsa_exception_fp_ieee_invalid_op 0
		.amdhsa_exception_fp_denorm_src 0
		.amdhsa_exception_fp_ieee_div_zero 0
		.amdhsa_exception_fp_ieee_overflow 0
		.amdhsa_exception_fp_ieee_underflow 0
		.amdhsa_exception_fp_ieee_inexact 0
		.amdhsa_exception_int_div_zero 0
	.end_amdhsa_kernel
	.text
.Lfunc_end0:
	.size	fft_rtc_fwd_len1496_factors_17_8_11_wgs_187_tpt_187_halfLds_half_ip_CI_unitstride_sbrr_dirReg, .Lfunc_end0-fft_rtc_fwd_len1496_factors_17_8_11_wgs_187_tpt_187_halfLds_half_ip_CI_unitstride_sbrr_dirReg
                                        ; -- End function
	.section	.AMDGPU.csdata,"",@progbits
; Kernel info:
; codeLenInByte = 9432
; NumSgprs: 54
; NumVgprs: 82
; ScratchSize: 0
; MemoryBound: 0
; FloatMode: 240
; IeeeMode: 1
; LDSByteSize: 0 bytes/workgroup (compile time only)
; SGPRBlocks: 6
; VGPRBlocks: 20
; NumSGPRsForWavesPerEU: 54
; NumVGPRsForWavesPerEU: 82
; Occupancy: 3
; WaveLimiterHint : 1
; COMPUTE_PGM_RSRC2:SCRATCH_EN: 0
; COMPUTE_PGM_RSRC2:USER_SGPR: 6
; COMPUTE_PGM_RSRC2:TRAP_HANDLER: 0
; COMPUTE_PGM_RSRC2:TGID_X_EN: 1
; COMPUTE_PGM_RSRC2:TGID_Y_EN: 0
; COMPUTE_PGM_RSRC2:TGID_Z_EN: 0
; COMPUTE_PGM_RSRC2:TIDIG_COMP_CNT: 0
	.type	__hip_cuid_661aa0a764575fa1,@object ; @__hip_cuid_661aa0a764575fa1
	.section	.bss,"aw",@nobits
	.globl	__hip_cuid_661aa0a764575fa1
__hip_cuid_661aa0a764575fa1:
	.byte	0                               ; 0x0
	.size	__hip_cuid_661aa0a764575fa1, 1

	.ident	"AMD clang version 19.0.0git (https://github.com/RadeonOpenCompute/llvm-project roc-6.4.0 25133 c7fe45cf4b819c5991fe208aaa96edf142730f1d)"
	.section	".note.GNU-stack","",@progbits
	.addrsig
	.addrsig_sym __hip_cuid_661aa0a764575fa1
	.amdgpu_metadata
---
amdhsa.kernels:
  - .args:
      - .actual_access:  read_only
        .address_space:  global
        .offset:         0
        .size:           8
        .value_kind:     global_buffer
      - .offset:         8
        .size:           8
        .value_kind:     by_value
      - .actual_access:  read_only
        .address_space:  global
        .offset:         16
        .size:           8
        .value_kind:     global_buffer
      - .actual_access:  read_only
        .address_space:  global
        .offset:         24
        .size:           8
        .value_kind:     global_buffer
      - .offset:         32
        .size:           8
        .value_kind:     by_value
      - .actual_access:  read_only
        .address_space:  global
        .offset:         40
        .size:           8
        .value_kind:     global_buffer
      - .actual_access:  read_only
        .address_space:  global
        .offset:         48
        .size:           8
        .value_kind:     global_buffer
      - .offset:         56
        .size:           4
        .value_kind:     by_value
      - .actual_access:  read_only
        .address_space:  global
        .offset:         64
        .size:           8
        .value_kind:     global_buffer
      - .actual_access:  read_only
        .address_space:  global
        .offset:         72
        .size:           8
        .value_kind:     global_buffer
      - .address_space:  global
        .offset:         80
        .size:           8
        .value_kind:     global_buffer
    .group_segment_fixed_size: 0
    .kernarg_segment_align: 8
    .kernarg_segment_size: 88
    .language:       OpenCL C
    .language_version:
      - 2
      - 0
    .max_flat_workgroup_size: 187
    .name:           fft_rtc_fwd_len1496_factors_17_8_11_wgs_187_tpt_187_halfLds_half_ip_CI_unitstride_sbrr_dirReg
    .private_segment_fixed_size: 0
    .sgpr_count:     54
    .sgpr_spill_count: 0
    .symbol:         fft_rtc_fwd_len1496_factors_17_8_11_wgs_187_tpt_187_halfLds_half_ip_CI_unitstride_sbrr_dirReg.kd
    .uniform_work_group_size: 1
    .uses_dynamic_stack: false
    .vgpr_count:     82
    .vgpr_spill_count: 0
    .wavefront_size: 64
amdhsa.target:   amdgcn-amd-amdhsa--gfx906
amdhsa.version:
  - 1
  - 2
...

	.end_amdgpu_metadata
